;; amdgpu-corpus repo=ROCm/bitsandbytes kind=harvested arch=n/a opt=n/a
	.text
	.amdgcn_target "amdgcn-amd-amdhsa--gfx90a"
	.amdhsa_code_object_version 6
	.protected	_Z5kfuncIfLi0EEvPT_S1_S0_l ; -- Begin function _Z5kfuncIfLi0EEvPT_S1_S0_l
	.globl	_Z5kfuncIfLi0EEvPT_S1_S0_l
	.p2align	8
	.type	_Z5kfuncIfLi0EEvPT_S1_S0_l,@function
_Z5kfuncIfLi0EEvPT_S1_S0_l:             ; @_Z5kfuncIfLi0EEvPT_S1_S0_l
; %bb.0:
	s_load_dword s7, s[4:5], 0x2c
	s_load_dwordx2 s[2:3], s[4:5], 0x18
	s_add_u32 s0, s4, 32
	s_addc_u32 s1, s5, 0
	v_mov_b32_e32 v1, 0
	s_waitcnt lgkmcnt(0)
	s_and_b32 s7, s7, 0xffff
	s_mul_i32 s6, s6, s7
	v_add_u32_e32 v0, s6, v0
	v_cmp_gt_i64_e32 vcc, s[2:3], v[0:1]
	s_and_saveexec_b64 s[8:9], vcc
	s_cbranch_execz .LBB6_3
; %bb.1:
	s_load_dword s6, s[0:1], 0x0
	s_load_dwordx2 s[8:9], s[4:5], 0x0
	s_load_dword s10, s[4:5], 0x10
	s_mov_b32 s5, 0
	v_lshlrev_b64 v[2:3], 2, v[0:1]
	s_waitcnt lgkmcnt(0)
	s_mul_i32 s4, s6, s7
	v_mov_b32_e32 v4, s9
	v_add_co_u32_e32 v2, vcc, s8, v2
	s_lshl_b64 s[6:7], s[4:5], 2
	v_addc_co_u32_e32 v3, vcc, v4, v3, vcc
	s_mov_b64 s[8:9], 0
	v_mov_b32_e32 v4, s10
	v_mov_b32_e32 v5, s5
	v_mov_b32_e32 v6, s7
.LBB6_2:                                ; =>This Inner Loop Header: Depth=1
	v_add_co_u32_e32 v0, vcc, s4, v0
	v_addc_co_u32_e32 v1, vcc, v1, v5, vcc
	global_store_dword v[2:3], v4, off
	v_add_co_u32_e32 v2, vcc, s6, v2
	v_cmp_le_i64_e64 s[0:1], s[2:3], v[0:1]
	s_or_b64 s[8:9], s[0:1], s[8:9]
	v_addc_co_u32_e32 v3, vcc, v3, v6, vcc
	s_andn2_b64 exec, exec, s[8:9]
	s_cbranch_execnz .LBB6_2
.LBB6_3:
	s_endpgm
	.section	.rodata,"a",@progbits
	.p2align	6, 0x0
	.amdhsa_kernel _Z5kfuncIfLi0EEvPT_S1_S0_l
		.amdhsa_group_segment_fixed_size 0
		.amdhsa_private_segment_fixed_size 0
		.amdhsa_kernarg_size 288
		.amdhsa_user_sgpr_count 6
		.amdhsa_user_sgpr_private_segment_buffer 1
		.amdhsa_user_sgpr_dispatch_ptr 0
		.amdhsa_user_sgpr_queue_ptr 0
		.amdhsa_user_sgpr_kernarg_segment_ptr 1
		.amdhsa_user_sgpr_dispatch_id 0
		.amdhsa_user_sgpr_flat_scratch_init 0
		.amdhsa_user_sgpr_kernarg_preload_length 0
		.amdhsa_user_sgpr_kernarg_preload_offset 0
		.amdhsa_user_sgpr_private_segment_size 0
		.amdhsa_uses_dynamic_stack 0
		.amdhsa_system_sgpr_private_segment_wavefront_offset 0
		.amdhsa_system_sgpr_workgroup_id_x 1
		.amdhsa_system_sgpr_workgroup_id_y 0
		.amdhsa_system_sgpr_workgroup_id_z 0
		.amdhsa_system_sgpr_workgroup_info 0
		.amdhsa_system_vgpr_workitem_id 0
		.amdhsa_next_free_vgpr 7
		.amdhsa_next_free_sgpr 11
		.amdhsa_accum_offset 8
		.amdhsa_reserve_vcc 1
		.amdhsa_reserve_flat_scratch 0
		.amdhsa_float_round_mode_32 0
		.amdhsa_float_round_mode_16_64 0
		.amdhsa_float_denorm_mode_32 3
		.amdhsa_float_denorm_mode_16_64 3
		.amdhsa_dx10_clamp 1
		.amdhsa_ieee_mode 1
		.amdhsa_fp16_overflow 0
		.amdhsa_tg_split 0
		.amdhsa_exception_fp_ieee_invalid_op 0
		.amdhsa_exception_fp_denorm_src 0
		.amdhsa_exception_fp_ieee_div_zero 0
		.amdhsa_exception_fp_ieee_overflow 0
		.amdhsa_exception_fp_ieee_underflow 0
		.amdhsa_exception_fp_ieee_inexact 0
		.amdhsa_exception_int_div_zero 0
	.end_amdhsa_kernel
	.section	.text._Z5kfuncIfLi0EEvPT_S1_S0_l,"axG",@progbits,_Z5kfuncIfLi0EEvPT_S1_S0_l,comdat
.Lfunc_end6:
	.size	_Z5kfuncIfLi0EEvPT_S1_S0_l, .Lfunc_end6-_Z5kfuncIfLi0EEvPT_S1_S0_l
                                        ; -- End function
	.section	.AMDGPU.csdata,"",@progbits
; Kernel info:
; codeLenInByte = 184
; NumSgprs: 15
; NumVgprs: 7
; NumAgprs: 0
; TotalNumVgprs: 7
; ScratchSize: 0
; MemoryBound: 0
; FloatMode: 240
; IeeeMode: 1
; LDSByteSize: 0 bytes/workgroup (compile time only)
; SGPRBlocks: 1
; VGPRBlocks: 0
; NumSGPRsForWavesPerEU: 15
; NumVGPRsForWavesPerEU: 7
; AccumOffset: 8
; Occupancy: 8
; WaveLimiterHint : 0
; COMPUTE_PGM_RSRC2:SCRATCH_EN: 0
; COMPUTE_PGM_RSRC2:USER_SGPR: 6
; COMPUTE_PGM_RSRC2:TRAP_HANDLER: 0
; COMPUTE_PGM_RSRC2:TGID_X_EN: 1
; COMPUTE_PGM_RSRC2:TGID_Y_EN: 0
; COMPUTE_PGM_RSRC2:TGID_Z_EN: 0
; COMPUTE_PGM_RSRC2:TIDIG_COMP_CNT: 0
; COMPUTE_PGM_RSRC3_GFX90A:ACCUM_OFFSET: 1
; COMPUTE_PGM_RSRC3_GFX90A:TG_SPLIT: 0
	.section	.text._Z5kfuncIhLi0EEvPT_S1_S0_l,"axG",@progbits,_Z5kfuncIhLi0EEvPT_S1_S0_l,comdat
